;; amdgpu-corpus repo=ROCm/rocFFT kind=compiled arch=gfx1030 opt=O3
	.text
	.amdgcn_target "amdgcn-amd-amdhsa--gfx1030"
	.amdhsa_code_object_version 6
	.protected	fft_rtc_fwd_len1440_factors_10_16_3_3_wgs_90_tpt_90_halfLds_dp_ip_CI_unitstride_sbrr_dirReg ; -- Begin function fft_rtc_fwd_len1440_factors_10_16_3_3_wgs_90_tpt_90_halfLds_dp_ip_CI_unitstride_sbrr_dirReg
	.globl	fft_rtc_fwd_len1440_factors_10_16_3_3_wgs_90_tpt_90_halfLds_dp_ip_CI_unitstride_sbrr_dirReg
	.p2align	8
	.type	fft_rtc_fwd_len1440_factors_10_16_3_3_wgs_90_tpt_90_halfLds_dp_ip_CI_unitstride_sbrr_dirReg,@function
fft_rtc_fwd_len1440_factors_10_16_3_3_wgs_90_tpt_90_halfLds_dp_ip_CI_unitstride_sbrr_dirReg: ; @fft_rtc_fwd_len1440_factors_10_16_3_3_wgs_90_tpt_90_halfLds_dp_ip_CI_unitstride_sbrr_dirReg
; %bb.0:
	s_clause 0x2
	s_load_dwordx4 s[8:11], s[4:5], 0x0
	s_load_dwordx2 s[2:3], s[4:5], 0x50
	s_load_dwordx2 s[12:13], s[4:5], 0x18
	v_mul_u32_u24_e32 v1, 0x2d9, v0
	v_mov_b32_e32 v3, 0
	v_add_nc_u32_sdwa v5, s6, v1 dst_sel:DWORD dst_unused:UNUSED_PAD src0_sel:DWORD src1_sel:WORD_1
	v_mov_b32_e32 v1, 0
	v_mov_b32_e32 v6, v3
	v_mov_b32_e32 v2, 0
	s_waitcnt lgkmcnt(0)
	v_cmp_lt_u64_e64 s0, s[10:11], 2
	s_and_b32 vcc_lo, exec_lo, s0
	s_cbranch_vccnz .LBB0_8
; %bb.1:
	s_load_dwordx2 s[0:1], s[4:5], 0x10
	v_mov_b32_e32 v1, 0
	s_add_u32 s6, s12, 8
	v_mov_b32_e32 v2, 0
	s_addc_u32 s7, s13, 0
	s_mov_b64 s[16:17], 1
	s_waitcnt lgkmcnt(0)
	s_add_u32 s14, s0, 8
	s_addc_u32 s15, s1, 0
.LBB0_2:                                ; =>This Inner Loop Header: Depth=1
	s_load_dwordx2 s[18:19], s[14:15], 0x0
                                        ; implicit-def: $vgpr7_vgpr8
	s_mov_b32 s0, exec_lo
	s_waitcnt lgkmcnt(0)
	v_or_b32_e32 v4, s19, v6
	v_cmpx_ne_u64_e32 0, v[3:4]
	s_xor_b32 s1, exec_lo, s0
	s_cbranch_execz .LBB0_4
; %bb.3:                                ;   in Loop: Header=BB0_2 Depth=1
	v_cvt_f32_u32_e32 v4, s18
	v_cvt_f32_u32_e32 v7, s19
	s_sub_u32 s0, 0, s18
	s_subb_u32 s20, 0, s19
	v_fmac_f32_e32 v4, 0x4f800000, v7
	v_rcp_f32_e32 v4, v4
	v_mul_f32_e32 v4, 0x5f7ffffc, v4
	v_mul_f32_e32 v7, 0x2f800000, v4
	v_trunc_f32_e32 v7, v7
	v_fmac_f32_e32 v4, 0xcf800000, v7
	v_cvt_u32_f32_e32 v7, v7
	v_cvt_u32_f32_e32 v4, v4
	v_mul_lo_u32 v8, s0, v7
	v_mul_hi_u32 v9, s0, v4
	v_mul_lo_u32 v10, s20, v4
	v_add_nc_u32_e32 v8, v9, v8
	v_mul_lo_u32 v9, s0, v4
	v_add_nc_u32_e32 v8, v8, v10
	v_mul_hi_u32 v10, v4, v9
	v_mul_lo_u32 v11, v4, v8
	v_mul_hi_u32 v12, v4, v8
	v_mul_hi_u32 v13, v7, v9
	v_mul_lo_u32 v9, v7, v9
	v_mul_hi_u32 v14, v7, v8
	v_mul_lo_u32 v8, v7, v8
	v_add_co_u32 v10, vcc_lo, v10, v11
	v_add_co_ci_u32_e32 v11, vcc_lo, 0, v12, vcc_lo
	v_add_co_u32 v9, vcc_lo, v10, v9
	v_add_co_ci_u32_e32 v9, vcc_lo, v11, v13, vcc_lo
	v_add_co_ci_u32_e32 v10, vcc_lo, 0, v14, vcc_lo
	v_add_co_u32 v8, vcc_lo, v9, v8
	v_add_co_ci_u32_e32 v9, vcc_lo, 0, v10, vcc_lo
	v_add_co_u32 v4, vcc_lo, v4, v8
	v_add_co_ci_u32_e32 v7, vcc_lo, v7, v9, vcc_lo
	v_mul_hi_u32 v8, s0, v4
	v_mul_lo_u32 v10, s20, v4
	v_mul_lo_u32 v9, s0, v7
	v_add_nc_u32_e32 v8, v8, v9
	v_mul_lo_u32 v9, s0, v4
	v_add_nc_u32_e32 v8, v8, v10
	v_mul_hi_u32 v10, v4, v9
	v_mul_lo_u32 v11, v4, v8
	v_mul_hi_u32 v12, v4, v8
	v_mul_hi_u32 v13, v7, v9
	v_mul_lo_u32 v9, v7, v9
	v_mul_hi_u32 v14, v7, v8
	v_mul_lo_u32 v8, v7, v8
	v_add_co_u32 v10, vcc_lo, v10, v11
	v_add_co_ci_u32_e32 v11, vcc_lo, 0, v12, vcc_lo
	v_add_co_u32 v9, vcc_lo, v10, v9
	v_add_co_ci_u32_e32 v9, vcc_lo, v11, v13, vcc_lo
	v_add_co_ci_u32_e32 v10, vcc_lo, 0, v14, vcc_lo
	v_add_co_u32 v8, vcc_lo, v9, v8
	v_add_co_ci_u32_e32 v9, vcc_lo, 0, v10, vcc_lo
	v_add_co_u32 v4, vcc_lo, v4, v8
	v_add_co_ci_u32_e32 v11, vcc_lo, v7, v9, vcc_lo
	v_mul_hi_u32 v13, v5, v4
	v_mad_u64_u32 v[9:10], null, v6, v4, 0
	v_mad_u64_u32 v[7:8], null, v5, v11, 0
	;; [unrolled: 1-line block ×3, first 2 shown]
	v_add_co_u32 v4, vcc_lo, v13, v7
	v_add_co_ci_u32_e32 v7, vcc_lo, 0, v8, vcc_lo
	v_add_co_u32 v4, vcc_lo, v4, v9
	v_add_co_ci_u32_e32 v4, vcc_lo, v7, v10, vcc_lo
	v_add_co_ci_u32_e32 v7, vcc_lo, 0, v12, vcc_lo
	v_add_co_u32 v4, vcc_lo, v4, v11
	v_add_co_ci_u32_e32 v9, vcc_lo, 0, v7, vcc_lo
	v_mul_lo_u32 v10, s19, v4
	v_mad_u64_u32 v[7:8], null, s18, v4, 0
	v_mul_lo_u32 v11, s18, v9
	v_sub_co_u32 v7, vcc_lo, v5, v7
	v_add3_u32 v8, v8, v11, v10
	v_sub_nc_u32_e32 v10, v6, v8
	v_subrev_co_ci_u32_e64 v10, s0, s19, v10, vcc_lo
	v_add_co_u32 v11, s0, v4, 2
	v_add_co_ci_u32_e64 v12, s0, 0, v9, s0
	v_sub_co_u32 v13, s0, v7, s18
	v_sub_co_ci_u32_e32 v8, vcc_lo, v6, v8, vcc_lo
	v_subrev_co_ci_u32_e64 v10, s0, 0, v10, s0
	v_cmp_le_u32_e32 vcc_lo, s18, v13
	v_cmp_eq_u32_e64 s0, s19, v8
	v_cndmask_b32_e64 v13, 0, -1, vcc_lo
	v_cmp_le_u32_e32 vcc_lo, s19, v10
	v_cndmask_b32_e64 v14, 0, -1, vcc_lo
	v_cmp_le_u32_e32 vcc_lo, s18, v7
	;; [unrolled: 2-line block ×3, first 2 shown]
	v_cndmask_b32_e64 v15, 0, -1, vcc_lo
	v_cmp_eq_u32_e32 vcc_lo, s19, v10
	v_cndmask_b32_e64 v7, v15, v7, s0
	v_cndmask_b32_e32 v10, v14, v13, vcc_lo
	v_add_co_u32 v13, vcc_lo, v4, 1
	v_add_co_ci_u32_e32 v14, vcc_lo, 0, v9, vcc_lo
	v_cmp_ne_u32_e32 vcc_lo, 0, v10
	v_cndmask_b32_e32 v8, v14, v12, vcc_lo
	v_cndmask_b32_e32 v10, v13, v11, vcc_lo
	v_cmp_ne_u32_e32 vcc_lo, 0, v7
	v_cndmask_b32_e32 v8, v9, v8, vcc_lo
	v_cndmask_b32_e32 v7, v4, v10, vcc_lo
.LBB0_4:                                ;   in Loop: Header=BB0_2 Depth=1
	s_andn2_saveexec_b32 s0, s1
	s_cbranch_execz .LBB0_6
; %bb.5:                                ;   in Loop: Header=BB0_2 Depth=1
	v_cvt_f32_u32_e32 v4, s18
	s_sub_i32 s1, 0, s18
	v_rcp_iflag_f32_e32 v4, v4
	v_mul_f32_e32 v4, 0x4f7ffffe, v4
	v_cvt_u32_f32_e32 v4, v4
	v_mul_lo_u32 v7, s1, v4
	v_mul_hi_u32 v7, v4, v7
	v_add_nc_u32_e32 v4, v4, v7
	v_mul_hi_u32 v4, v5, v4
	v_mul_lo_u32 v7, v4, s18
	v_add_nc_u32_e32 v8, 1, v4
	v_sub_nc_u32_e32 v7, v5, v7
	v_subrev_nc_u32_e32 v9, s18, v7
	v_cmp_le_u32_e32 vcc_lo, s18, v7
	v_cndmask_b32_e32 v7, v7, v9, vcc_lo
	v_cndmask_b32_e32 v4, v4, v8, vcc_lo
	v_cmp_le_u32_e32 vcc_lo, s18, v7
	v_add_nc_u32_e32 v8, 1, v4
	v_cndmask_b32_e32 v7, v4, v8, vcc_lo
	v_mov_b32_e32 v8, v3
.LBB0_6:                                ;   in Loop: Header=BB0_2 Depth=1
	s_or_b32 exec_lo, exec_lo, s0
	s_load_dwordx2 s[0:1], s[6:7], 0x0
	v_mul_lo_u32 v4, v8, s18
	v_mul_lo_u32 v11, v7, s19
	v_mad_u64_u32 v[9:10], null, v7, s18, 0
	s_add_u32 s16, s16, 1
	s_addc_u32 s17, s17, 0
	s_add_u32 s6, s6, 8
	s_addc_u32 s7, s7, 0
	;; [unrolled: 2-line block ×3, first 2 shown]
	v_add3_u32 v4, v10, v11, v4
	v_sub_co_u32 v5, vcc_lo, v5, v9
	v_sub_co_ci_u32_e32 v4, vcc_lo, v6, v4, vcc_lo
	s_waitcnt lgkmcnt(0)
	v_mul_lo_u32 v6, s1, v5
	v_mul_lo_u32 v4, s0, v4
	v_mad_u64_u32 v[1:2], null, s0, v5, v[1:2]
	v_cmp_ge_u64_e64 s0, s[16:17], s[10:11]
	s_and_b32 vcc_lo, exec_lo, s0
	v_add3_u32 v2, v6, v2, v4
	s_cbranch_vccnz .LBB0_9
; %bb.7:                                ;   in Loop: Header=BB0_2 Depth=1
	v_mov_b32_e32 v5, v7
	v_mov_b32_e32 v6, v8
	s_branch .LBB0_2
.LBB0_8:
	v_mov_b32_e32 v8, v6
	v_mov_b32_e32 v7, v5
.LBB0_9:
	s_lshl_b64 s[0:1], s[10:11], 3
	v_mul_hi_u32 v5, 0x2d82d83, v0
	s_add_u32 s0, s12, s0
	s_addc_u32 s1, s13, s1
                                        ; implicit-def: $vgpr16_vgpr17
                                        ; implicit-def: $vgpr28_vgpr29
                                        ; implicit-def: $vgpr72_vgpr73
                                        ; implicit-def: $vgpr76_vgpr77
                                        ; implicit-def: $vgpr52_vgpr53
                                        ; implicit-def: $vgpr40_vgpr41
                                        ; implicit-def: $vgpr12_vgpr13
                                        ; implicit-def: $vgpr68_vgpr69
                                        ; implicit-def: $vgpr64_vgpr65
                                        ; implicit-def: $vgpr56_vgpr57
                                        ; implicit-def: $vgpr32_vgpr33
                                        ; implicit-def: $vgpr20_vgpr21
                                        ; implicit-def: $vgpr24_vgpr25
                                        ; implicit-def: $vgpr36_vgpr37
                                        ; implicit-def: $vgpr60_vgpr61
                                        ; implicit-def: $vgpr48_vgpr49
                                        ; implicit-def: $vgpr80_vgpr81
                                        ; implicit-def: $vgpr44_vgpr45
	s_load_dwordx2 s[0:1], s[0:1], 0x0
	s_load_dwordx2 s[4:5], s[4:5], 0x20
	s_waitcnt lgkmcnt(0)
	v_mul_lo_u32 v3, s0, v8
	v_mul_lo_u32 v4, s1, v7
	v_mad_u64_u32 v[1:2], null, s0, v7, v[1:2]
	v_cmp_gt_u64_e32 vcc_lo, s[4:5], v[7:8]
                                        ; implicit-def: $vgpr8_vgpr9
	v_add3_u32 v2, v4, v2, v3
	v_mul_u32_u24_e32 v3, 0x5a, v5
                                        ; implicit-def: $vgpr4_vgpr5
	v_lshlrev_b64 v[84:85], 4, v[1:2]
	v_sub_nc_u32_e32 v82, v0, v3
	s_and_saveexec_b32 s1, vcc_lo
	s_cbranch_execz .LBB0_13
; %bb.10:
	v_mov_b32_e32 v83, 0
	v_add_co_u32 v8, s0, s2, v84
	v_add_co_ci_u32_e64 v9, s0, s3, v85, s0
	v_lshlrev_b64 v[0:1], 4, v[82:83]
	s_mov_b32 s4, exec_lo
                                        ; implicit-def: $vgpr58_vgpr59
                                        ; implicit-def: $vgpr34_vgpr35
                                        ; implicit-def: $vgpr22_vgpr23
                                        ; implicit-def: $vgpr18_vgpr19
                                        ; implicit-def: $vgpr30_vgpr31
                                        ; implicit-def: $vgpr54_vgpr55
                                        ; implicit-def: $vgpr62_vgpr63
                                        ; implicit-def: $vgpr66_vgpr67
                                        ; implicit-def: $vgpr10_vgpr11
	v_add_co_u32 v0, s0, v8, v0
	v_add_co_ci_u32_e64 v1, s0, v9, v1, s0
	v_add_co_u32 v12, s0, 0x800, v0
	v_add_co_ci_u32_e64 v13, s0, 0, v1, s0
	v_add_co_u32 v20, s0, 0x1000, v0
	v_add_co_ci_u32_e64 v21, s0, 0, v1, s0
	v_add_co_u32 v6, s0, 0x1800, v0
	v_add_co_ci_u32_e64 v7, s0, 0, v1, s0
	v_add_co_u32 v24, s0, 0x2000, v0
	s_clause 0x3
	global_load_dwordx4 v[42:45], v[0:1], off
	global_load_dwordx4 v[2:5], v[12:13], off offset:256
	global_load_dwordx4 v[14:17], v[20:21], off offset:512
	;; [unrolled: 1-line block ×3, first 2 shown]
	v_or_b32_e32 v6, 0x480, v82
	v_mov_b32_e32 v7, v83
	v_add_co_ci_u32_e64 v25, s0, 0, v1, s0
	v_add_co_u32 v32, s0, 0x2800, v0
	v_add_co_ci_u32_e64 v33, s0, 0, v1, s0
	v_add_co_u32 v60, s0, 0x3000, v0
	v_lshlrev_b64 v[6:7], 4, v[6:7]
	v_add_co_ci_u32_e64 v61, s0, 0, v1, s0
	v_add_co_u32 v36, s0, 0x3800, v0
	v_add_co_ci_u32_e64 v37, s0, 0, v1, s0
	v_add_co_u32 v6, s0, v8, v6
	;; [unrolled: 2-line block ×3, first 2 shown]
	v_add_co_ci_u32_e64 v87, s0, 0, v1, s0
	s_clause 0x5
	global_load_dwordx4 v[70:73], v[24:25], off offset:1024
	global_load_dwordx4 v[74:77], v[32:33], off offset:1280
	global_load_dwordx4 v[78:81], v[60:61], off offset:1536
	global_load_dwordx4 v[50:53], v[36:37], off offset:1792
	global_load_dwordx4 v[38:41], v[6:7], off
	global_load_dwordx4 v[46:49], v[86:87], off offset:256
                                        ; implicit-def: $vgpr6_vgpr7
	v_cmpx_gt_u32_e32 54, v82
; %bb.11:
	v_add_co_u32 v18, s0, 0x4000, v0
	v_add_co_ci_u32_e64 v19, s0, 0, v1, s0
	s_clause 0x1
	global_load_dwordx4 v[6:9], v[0:1], off offset:1440
	global_load_dwordx4 v[10:13], v[12:13], off offset:1696
	v_add_co_u32 v0, s0, 0x4800, v0
	v_add_co_ci_u32_e64 v1, s0, 0, v1, s0
	s_clause 0x7
	global_load_dwordx4 v[66:69], v[20:21], off offset:1952
	global_load_dwordx4 v[62:65], v[24:25], off offset:160
	;; [unrolled: 1-line block ×8, first 2 shown]
; %bb.12:
	s_or_b32 exec_lo, exec_lo, s4
.LBB0_13:
	s_or_b32 exec_lo, exec_lo, s1
	s_waitcnt vmcnt(2)
	v_add_f64 v[0:1], v[76:77], v[52:53]
	s_waitcnt vmcnt(0)
	v_add_f64 v[86:87], v[26:27], v[46:47]
	v_add_f64 v[90:91], v[74:75], v[50:51]
	;; [unrolled: 1-line block ×3, first 2 shown]
	v_add_f64 v[116:117], v[26:27], -v[46:47]
	v_add_f64 v[118:119], v[76:77], -v[52:53]
	;; [unrolled: 1-line block ×3, first 2 shown]
	s_mov_b32 s4, 0x134454ff
	s_mov_b32 s5, 0x3fee6f0e
	;; [unrolled: 1-line block ×4, first 2 shown]
	v_add_f64 v[98:99], v[26:27], -v[74:75]
	v_add_f64 v[100:101], v[46:47], -v[50:51]
	;; [unrolled: 1-line block ×6, first 2 shown]
	v_add_f64 v[120:121], v[70:71], v[78:79]
	v_add_f64 v[124:125], v[14:15], v[38:39]
	v_add_f64 v[130:131], v[74:75], -v[50:51]
	s_mov_b32 s6, 0x4755a5e
	s_mov_b32 s7, 0x3fe2cf23
	v_fma_f64 v[0:1], v[0:1], -0.5, v[4:5]
	v_fma_f64 v[86:87], v[86:87], -0.5, v[2:3]
	;; [unrolled: 1-line block ×3, first 2 shown]
	v_add_f64 v[2:3], v[2:3], v[26:27]
	v_fma_f64 v[26:27], v[114:115], -0.5, v[4:5]
	s_mov_b32 s15, 0xbfe2cf23
	s_mov_b32 s14, s6
	v_add_f64 v[88:89], v[14:15], -v[70:71]
	v_add_f64 v[92:93], v[38:39], -v[78:79]
	;; [unrolled: 1-line block ×8, first 2 shown]
	v_add_f64 v[132:133], v[14:15], v[42:43]
	v_add_f64 v[98:99], v[98:99], v[100:101]
	v_fma_f64 v[120:121], v[120:121], -0.5, v[42:43]
	v_fma_f64 v[42:43], v[124:125], -0.5, v[42:43]
	v_add_f64 v[100:101], v[102:103], v[104:105]
	v_add_f64 v[102:103], v[106:107], v[108:109]
	s_mov_b32 s10, 0x372fe950
	v_fma_f64 v[134:135], v[116:117], s[12:13], v[0:1]
	v_fma_f64 v[138:139], v[118:119], s[12:13], v[86:87]
	;; [unrolled: 1-line block ×8, first 2 shown]
	s_mov_b32 s11, 0x3fd3c6ef
	v_add_f64 v[114:115], v[66:67], -v[54:55]
	v_add_f64 v[136:137], v[18:19], -v[34:35]
	v_add_f64 v[88:89], v[88:89], v[92:93]
	v_add_f64 v[92:93], v[62:63], v[30:31]
	;; [unrolled: 1-line block ×5, first 2 shown]
	s_mov_b32 s16, 0x9b97f4a8
	v_fma_f64 v[112:113], v[126:127], s[12:13], v[120:121]
	v_fma_f64 v[154:155], v[128:129], s[4:5], v[42:43]
	s_mov_b32 s17, 0x3fe9e377
	v_add_f64 v[140:141], v[62:63], -v[58:59]
	v_add_f64 v[144:145], v[30:31], -v[22:23]
	v_fma_f64 v[106:107], v[130:131], s[14:15], v[134:135]
	v_fma_f64 v[108:109], v[122:123], s[6:7], v[138:139]
	;; [unrolled: 1-line block ×4, first 2 shown]
	v_add_f64 v[122:123], v[22:23], v[58:59]
	v_add_f64 v[142:143], v[94:95], v[96:97]
	v_fma_f64 v[96:97], v[126:127], s[4:5], v[120:121]
	v_add_f64 v[120:121], v[24:25], v[60:61]
	v_fma_f64 v[90:91], v[118:119], s[6:7], v[90:91]
	v_fma_f64 v[118:119], v[128:129], s[12:13], v[42:43]
	;; [unrolled: 1-line block ×3, first 2 shown]
	v_add_f64 v[130:131], v[64:65], v[32:33]
	v_fma_f64 v[104:105], v[116:117], s[14:15], v[104:105]
	v_fma_f64 v[116:117], v[116:117], s[6:7], v[26:27]
	v_add_f64 v[146:147], v[58:59], -v[62:63]
	v_add_f64 v[148:149], v[22:23], -v[30:31]
	;; [unrolled: 1-line block ×4, first 2 shown]
	v_fma_f64 v[92:93], v[92:93], -0.5, v[10:11]
	v_fma_f64 v[112:113], v[128:129], s[14:15], v[112:113]
	v_add_f64 v[132:133], v[78:79], v[132:133]
	v_add_f64 v[2:3], v[2:3], v[50:51]
	v_fma_f64 v[74:75], v[102:103], s[10:11], v[106:107]
	v_fma_f64 v[26:27], v[100:101], s[10:11], v[108:109]
	v_fma_f64 v[94:95], v[100:101], s[10:11], v[86:87]
	v_fma_f64 v[42:43], v[98:99], s[10:11], v[138:139]
	v_add_f64 v[106:107], v[64:65], -v[32:33]
	v_add_f64 v[86:87], v[60:61], -v[24:25]
	v_add_f64 v[108:109], v[114:115], v[136:137]
	v_fma_f64 v[114:115], v[122:123], -0.5, v[10:11]
	v_add_f64 v[122:123], v[62:63], -v[30:31]
	v_fma_f64 v[136:137], v[128:129], s[6:7], v[96:97]
	v_add_f64 v[128:129], v[58:59], -v[22:23]
	v_fma_f64 v[120:121], v[120:121], -0.5, v[12:13]
	v_fma_f64 v[118:119], v[126:127], s[6:7], v[118:119]
	v_fma_f64 v[126:127], v[126:127], s[14:15], v[154:155]
	v_fma_f64 v[130:131], v[130:131], -0.5, v[12:13]
	v_fma_f64 v[98:99], v[98:99], s[10:11], v[90:91]
	v_fma_f64 v[96:97], v[102:103], s[10:11], v[0:1]
	;; [unrolled: 1-line block ×4, first 2 shown]
	v_add_f64 v[124:125], v[60:61], -v[64:65]
	v_add_f64 v[134:135], v[24:25], -v[32:33]
	v_add_f64 v[156:157], v[144:145], v[140:141]
	v_mul_f64 v[0:1], v[74:75], s[6:7]
	v_mul_f64 v[90:91], v[26:27], s[10:11]
	;; [unrolled: 1-line block ×4, first 2 shown]
	v_add_f64 v[110:111], v[148:149], v[146:147]
	v_fma_f64 v[138:139], v[86:87], s[12:13], v[92:93]
	v_fma_f64 v[92:93], v[86:87], s[4:5], v[92:93]
	;; [unrolled: 1-line block ×12, first 2 shown]
	v_add_f64 v[132:133], v[38:39], v[132:133]
	v_add_f64 v[2:3], v[2:3], v[46:47]
	;; [unrolled: 1-line block ×5, first 2 shown]
	v_fma_f64 v[46:47], v[98:99], s[16:17], v[0:1]
	v_fma_f64 v[90:91], v[50:51], s[4:5], v[90:91]
	v_fma_f64 v[102:103], v[100:101], s[4:5], -v[102:103]
	v_fma_f64 v[104:105], v[96:97], s[6:7], -v[104:105]
	v_add_f64 v[149:150], v[134:135], v[124:125]
	v_mul_u32_u24_e32 v83, 10, v82
	v_fma_f64 v[92:93], v[106:107], s[14:15], v[92:93]
	v_fma_f64 v[116:117], v[86:87], s[6:7], v[116:117]
	;; [unrolled: 1-line block ×4, first 2 shown]
	v_cmp_gt_u32_e64 s0, 54, v82
	v_fma_f64 v[112:113], v[128:129], s[14:15], v[112:113]
	v_fma_f64 v[153:154], v[128:129], s[6:7], v[120:121]
	v_add_f64 v[120:121], v[68:69], -v[20:21]
	v_lshl_add_u32 v128, v83, 3, 0
	v_fma_f64 v[106:107], v[122:123], s[14:15], v[140:141]
	v_fma_f64 v[158:159], v[122:123], s[6:7], v[130:131]
	v_add_f64 v[0:1], v[2:3], v[132:133]
	v_add_f64 v[131:132], v[132:133], -v[2:3]
	v_fma_f64 v[124:125], v[147:148], -0.5, v[6:7]
	v_add_f64 v[2:3], v[46:47], v[136:137]
	v_add_f64 v[133:134], v[136:137], -v[46:47]
	v_add_f64 v[135:136], v[118:119], -v[90:91]
	v_add_f64 v[137:138], v[118:119], v[90:91]
	v_add_f64 v[139:140], v[126:127], v[102:103]
	;; [unrolled: 1-line block ×3, first 2 shown]
	v_add_f64 v[141:142], v[126:127], -v[102:103]
	v_add_f64 v[143:144], v[88:89], -v[104:105]
	;; [unrolled: 1-line block ×4, first 2 shown]
	v_fma_f64 v[118:119], v[151:152], -0.5, v[6:7]
	v_add_f64 v[126:127], v[56:57], -v[36:37]
	v_fma_f64 v[104:105], v[156:157], s[10:11], v[116:117]
	v_fma_f64 v[86:87], v[156:157], s[10:11], v[86:87]
	;; [unrolled: 1-line block ×3, first 2 shown]
	ds_write_b128 v128, v[0:3]
	ds_write_b128 v128, v[137:140] offset:16
	ds_write_b128 v128, v[129:132] offset:32
	;; [unrolled: 1-line block ×4, first 2 shown]
	v_add_f64 v[122:123], v[46:47], v[88:89]
	v_fma_f64 v[46:47], v[149:150], s[10:11], v[106:107]
	v_fma_f64 v[102:103], v[126:127], s[12:13], v[118:119]
	;; [unrolled: 1-line block ×4, first 2 shown]
	v_mul_f64 v[0:1], v[104:105], s[16:17]
	v_fma_f64 v[90:91], v[126:127], s[6:7], v[90:91]
	v_mul_f64 v[2:3], v[46:47], s[4:5]
	v_fma_f64 v[92:93], v[120:121], s[6:7], v[102:103]
	v_fma_f64 v[102:103], v[145:146], s[10:11], v[112:113]
	;; [unrolled: 1-line block ×8, first 2 shown]
	v_add_f64 v[2:3], v[114:115], -v[116:117]
	v_add_f64 v[0:1], v[110:111], -v[112:113]
	s_and_saveexec_b32 s1, s0
	s_cbranch_execz .LBB0_15
; %bb.14:
	v_add_f64 v[6:7], v[6:7], v[66:67]
	v_add_f64 v[10:11], v[10:11], v[62:63]
	v_mul_f64 v[62:63], v[126:127], s[4:5]
	v_mul_f64 v[129:130], v[120:121], s[4:5]
	;; [unrolled: 1-line block ×3, first 2 shown]
	s_mov_b32 s21, 0xbfd3c6ef
	s_mov_b32 s20, s10
	;; [unrolled: 1-line block ×4, first 2 shown]
	v_mul_f64 v[108:109], v[108:109], s[10:11]
	v_add_f64 v[6:7], v[6:7], v[54:55]
	v_add_f64 v[10:11], v[10:11], v[58:59]
	v_mul_f64 v[58:59], v[120:121], s[6:7]
	v_add_f64 v[62:63], v[118:119], v[62:63]
	v_add_f64 v[124:125], v[124:125], -v[129:130]
	v_mul_f64 v[118:119], v[122:123], s[10:11]
	v_mul_f64 v[120:121], v[86:87], s[18:19]
	v_add_f64 v[6:7], v[6:7], v[34:35]
	v_add_f64 v[10:11], v[22:23], v[10:11]
	v_mul_f64 v[22:23], v[88:89], s[20:21]
	v_add_f64 v[58:59], v[62:63], -v[58:59]
	v_add_f64 v[122:123], v[124:125], -v[126:127]
	v_fma_f64 v[62:63], v[90:91], s[6:7], v[120:121]
	v_add_f64 v[6:7], v[18:19], v[6:7]
	v_add_f64 v[10:11], v[30:31], v[10:11]
	v_fma_f64 v[22:23], v[92:93], s[4:5], v[22:23]
	v_add_f64 v[30:31], v[118:119], v[58:59]
	v_add_f64 v[120:121], v[108:109], v[122:123]
	;; [unrolled: 1-line block ×5, first 2 shown]
	v_add_f64 v[122:123], v[6:7], -v[10:11]
	v_add_f64 v[110:111], v[30:31], v[22:23]
	v_add_f64 v[118:119], v[120:121], -v[62:63]
	v_add_f64 v[120:121], v[120:121], v[62:63]
	v_add_f64 v[116:117], v[30:31], -v[22:23]
	ds_write_b128 v128, v[0:3] offset:7248
	ds_write_b128 v128, v[112:115] offset:7200
	ds_write_b128 v128, v[108:111] offset:7216
	ds_write_b128 v128, v[120:123] offset:7232
	ds_write_b128 v128, v[116:119] offset:7264
.LBB0_15:
	s_or_b32 exec_lo, exec_lo, s1
	v_add_f64 v[6:7], v[72:73], v[80:81]
	v_add_f64 v[10:11], v[16:17], v[40:41]
	;; [unrolled: 1-line block ×5, first 2 shown]
	v_add_f64 v[14:15], v[14:15], -v[38:39]
	v_add_f64 v[4:5], v[4:5], v[28:29]
	v_add_f64 v[28:29], v[70:71], -v[78:79]
	v_add_f64 v[22:23], v[66:67], -v[18:19]
	;; [unrolled: 1-line block ×7, first 2 shown]
	v_mul_f64 v[98:99], v[98:99], s[14:15]
	v_mul_f64 v[100:101], v[100:101], s[10:11]
	;; [unrolled: 1-line block ×4, first 2 shown]
	s_waitcnt lgkmcnt(0)
	s_barrier
	buffer_gl0_inv
	v_add_nc_u32_e32 v83, 0x5a, v82
	v_fma_f64 v[6:7], v[6:7], -0.5, v[44:45]
	v_fma_f64 v[38:39], v[10:11], -0.5, v[44:45]
	v_fma_f64 v[10:11], v[58:59], -0.5, v[8:9]
	v_fma_f64 v[18:19], v[62:63], -0.5, v[8:9]
	v_add_f64 v[44:45], v[40:41], -v[80:81]
	v_add_f64 v[54:55], v[72:73], v[108:109]
	v_add_f64 v[4:5], v[4:5], v[76:77]
	v_add_f64 v[58:59], v[80:81], -v[40:41]
	v_add_f64 v[72:73], v[20:21], -v[36:37]
	;; [unrolled: 1-line block ×3, first 2 shown]
	v_fma_f64 v[114:115], v[74:75], s[16:17], v[98:99]
	v_fma_f64 v[118:119], v[94:95], s[12:13], -v[100:101]
	v_fma_f64 v[50:51], v[50:51], s[10:11], v[112:113]
	v_fma_f64 v[62:63], v[14:15], s[12:13], v[6:7]
	;; [unrolled: 1-line block ×7, first 2 shown]
	v_add_f64 v[34:35], v[34:35], v[44:45]
	v_add_f64 v[44:45], v[80:81], v[54:55]
	;; [unrolled: 1-line block ×4, first 2 shown]
	v_mul_f64 v[58:59], v[106:107], s[12:13]
	v_add_f64 v[78:79], v[76:77], v[78:79]
	v_fma_f64 v[52:53], v[28:29], s[14:15], v[62:63]
	v_fma_f64 v[54:55], v[14:15], s[14:15], v[66:67]
	;; [unrolled: 1-line block ×4, first 2 shown]
	v_mul_f64 v[38:39], v[104:105], s[14:15]
	v_add_f64 v[66:67], v[70:71], v[72:73]
	v_fma_f64 v[62:63], v[30:31], s[14:15], v[108:109]
	v_fma_f64 v[70:71], v[22:23], s[14:15], v[110:111]
	v_add_f64 v[98:99], v[40:41], v[44:45]
	v_add_f64 v[4:5], v[4:5], v[48:49]
	v_fma_f64 v[48:49], v[42:43], s[14:15], -v[96:97]
	v_mad_i32_i24 v104, 0xffffffb8, v82, v128
	v_add_nc_u32_e32 v105, 0x400, v104
	v_add_nc_u32_e32 v106, 0x800, v104
	v_add_nc_u32_e32 v108, 0x1000, v104
	v_add_nc_u32_e32 v107, 0x1400, v104
	v_add_nc_u32_e32 v109, 0x2000, v104
	v_add_nc_u32_e32 v81, 0x1800, v104
	v_fma_f64 v[52:53], v[34:35], s[10:11], v[52:53]
	v_fma_f64 v[116:117], v[16:17], s[10:11], v[54:55]
	;; [unrolled: 1-line block ×8, first 2 shown]
	v_add_nc_u32_e32 v80, 0x2400, v104
	ds_read2_b64 v[26:29], v104 offset1:90
	ds_read2_b64 v[74:77], v105 offset0:52 offset1:142
	ds_read2_b64 v[38:41], v106 offset0:104 offset1:194
	;; [unrolled: 1-line block ×5, first 2 shown]
	v_add_f64 v[94:95], v[4:5], v[98:99]
	v_add_f64 v[100:101], v[98:99], -v[4:5]
	v_add_f64 v[96:97], v[52:53], v[114:115]
	v_add_f64 v[110:111], v[116:117], v[50:51]
	;; [unrolled: 1-line block ×4, first 2 shown]
	v_add_f64 v[118:119], v[120:121], -v[118:119]
	v_add_f64 v[120:121], v[6:7], -v[48:49]
	;; [unrolled: 1-line block ×6, first 2 shown]
	ds_read2_b64 v[50:53], v109 offset0:56 offset1:146
	ds_read2_b64 v[46:49], v80 offset0:108 offset1:198
	s_waitcnt lgkmcnt(0)
	s_barrier
	buffer_gl0_inv
	ds_write_b128 v128, v[94:97]
	ds_write_b128 v128, v[110:113] offset:16
	ds_write_b128 v128, v[98:101] offset:32
	;; [unrolled: 1-line block ×4, first 2 shown]
	s_and_saveexec_b32 s1, s0
	s_cbranch_execz .LBB0_17
; %bb.16:
	v_add_f64 v[8:9], v[8:9], v[68:69]
	v_add_f64 v[12:13], v[12:13], v[64:65]
	v_mul_f64 v[64:65], v[30:31], s[4:5]
	v_mul_f64 v[68:69], v[22:23], s[4:5]
	;; [unrolled: 1-line block ×4, first 2 shown]
	s_mov_b32 s4, 0x372fe950
	s_mov_b32 s5, 0xbfd3c6ef
	;; [unrolled: 1-line block ×4, first 2 shown]
	v_add_f64 v[8:9], v[8:9], v[56:57]
	v_add_f64 v[12:13], v[12:13], v[60:61]
	v_add_f64 v[18:19], v[18:19], -v[64:65]
	v_add_f64 v[10:11], v[68:69], v[10:11]
	v_mul_f64 v[60:61], v[78:79], s[10:11]
	v_mul_f64 v[64:65], v[92:93], s[4:5]
	;; [unrolled: 1-line block ×4, first 2 shown]
	s_mov_b32 s4, 0x134454ff
	s_mov_b32 s5, 0xbfee6f0e
	;; [unrolled: 1-line block ×4, first 2 shown]
	v_add_f64 v[8:9], v[8:9], v[36:37]
	v_add_f64 v[12:13], v[24:25], v[12:13]
	;; [unrolled: 1-line block ×4, first 2 shown]
	v_fma_f64 v[30:31], v[88:89], s[4:5], v[64:65]
	v_fma_f64 v[36:37], v[86:87], s[6:7], v[66:67]
	v_add_f64 v[24:25], v[20:21], v[8:9]
	v_add_f64 v[12:13], v[32:33], v[12:13]
	;; [unrolled: 1-line block ×9, first 2 shown]
	v_add_f64 v[24:25], v[24:25], -v[12:13]
	v_add_f64 v[30:31], v[32:33], -v[30:31]
	;; [unrolled: 1-line block ×3, first 2 shown]
	v_mul_u32_u24_e32 v12, 10, v83
	v_lshl_add_u32 v12, v12, 3, 0
	ds_write_b128 v12, v[4:7] offset:48
	ds_write_b128 v12, v[8:11]
	ds_write_b128 v12, v[18:21] offset:16
	ds_write_b128 v12, v[22:25] offset:32
	;; [unrolled: 1-line block ×3, first 2 shown]
.LBB0_17:
	s_or_b32 exec_lo, exec_lo, s1
	v_and_b32_e32 v8, 0xff, v82
	v_mov_b32_e32 v10, 15
	s_waitcnt lgkmcnt(0)
	s_barrier
	buffer_gl0_inv
	v_mul_lo_u16 v8, 0xcd, v8
	s_mov_b32 s0, 0x667f3bcd
	s_mov_b32 s1, 0x3fe6a09e
	;; [unrolled: 1-line block ×4, first 2 shown]
	v_lshrrev_b16 v8, 11, v8
	s_mov_b32 s4, 0xcf328d46
	s_mov_b32 s5, 0xbfed906b
	;; [unrolled: 1-line block ×4, first 2 shown]
	v_mul_lo_u16 v9, v8, 10
	s_mov_b32 s6, 0xa6aea964
	s_mov_b32 s7, 0xbfd87de2
	;; [unrolled: 1-line block ×4, first 2 shown]
	v_sub_nc_u16 v9, v82, v9
	v_mul_u32_u24_sdwa v10, v9, v10 dst_sel:DWORD dst_unused:UNUSED_PAD src0_sel:BYTE_0 src1_sel:DWORD
	v_lshlrev_b32_e32 v30, 4, v10
	s_clause 0xe
	global_load_dwordx4 v[10:13], v30, s[8:9] offset:16
	global_load_dwordx4 v[18:21], v30, s[8:9] offset:32
	;; [unrolled: 1-line block ×6, first 2 shown]
	global_load_dwordx4 v[86:89], v30, s[8:9]
	global_load_dwordx4 v[90:93], v30, s[8:9] offset:144
	global_load_dwordx4 v[94:97], v30, s[8:9] offset:160
	;; [unrolled: 1-line block ×8, first 2 shown]
	ds_read2_b64 v[126:129], v105 offset0:52 offset1:142
	ds_read2_b64 v[30:33], v104 offset1:90
	ds_read2_b64 v[130:133], v81 offset0:132 offset1:222
	ds_read2_b64 v[134:137], v106 offset0:104 offset1:194
	;; [unrolled: 1-line block ×6, first 2 shown]
	s_waitcnt vmcnt(0) lgkmcnt(0)
	s_barrier
	buffer_gl0_inv
	v_mul_f64 v[102:103], v[126:127], v[12:13]
	v_mul_f64 v[12:13], v[74:75], v[12:13]
	;; [unrolled: 1-line block ×17, first 2 shown]
	v_fma_f64 v[74:75], v[74:75], v[10:11], -v[102:103]
	v_fma_f64 v[10:11], v[126:127], v[10:11], v[12:13]
	v_mul_f64 v[102:103], v[50:51], v[100:101]
	v_mul_f64 v[126:127], v[52:53], v[112:113]
	v_fma_f64 v[76:77], v[76:77], v[18:19], -v[146:147]
	v_mul_f64 v[146:147], v[46:47], v[116:117]
	v_fma_f64 v[18:19], v[128:129], v[18:19], v[20:21]
	v_mul_f64 v[20:21], v[28:29], v[88:89]
	v_mul_f64 v[88:89], v[54:55], v[36:37]
	v_fma_f64 v[12:13], v[134:135], v[22:23], v[148:149]
	v_mul_f64 v[134:135], v[56:57], v[124:125]
	v_fma_f64 v[128:129], v[136:137], v[58:59], v[150:151]
	v_fma_f64 v[136:137], v[138:139], v[62:63], v[152:153]
	;; [unrolled: 1-line block ×3, first 2 shown]
	v_fma_f64 v[140:141], v[72:73], v[94:95], -v[160:161]
	v_mul_f64 v[72:73], v[72:73], v[96:97]
	v_mul_f64 v[96:97], v[142:143], v[100:101]
	;; [unrolled: 1-line block ×4, first 2 shown]
	v_fma_f64 v[70:71], v[70:71], v[90:91], -v[158:159]
	v_fma_f64 v[22:23], v[38:39], v[22:23], -v[24:25]
	;; [unrolled: 1-line block ×3, first 2 shown]
	v_fma_f64 v[38:39], v[130:131], v[90:91], v[92:93]
	v_fma_f64 v[40:41], v[40:41], v[58:59], -v[60:61]
	v_fma_f64 v[100:101], v[142:143], v[98:99], v[102:103]
	v_fma_f64 v[102:103], v[144:145], v[110:111], v[126:127]
	;; [unrolled: 1-line block ×3, first 2 shown]
	v_mul_f64 v[80:81], v[80:81], v[120:121]
	v_mul_f64 v[120:121], v[16:17], v[124:125]
	v_fma_f64 v[78:79], v[78:79], v[114:115], v[146:147]
	v_fma_f64 v[88:89], v[14:15], v[34:35], -v[88:89]
	v_fma_f64 v[124:125], v[28:29], v[86:87], -v[156:157]
	;; [unrolled: 1-line block ×3, first 2 shown]
	v_fma_f64 v[20:21], v[32:33], v[86:87], v[20:21]
	v_fma_f64 v[44:45], v[44:45], v[66:67], -v[68:69]
	v_add_f64 v[66:67], v[76:77], -v[140:141]
	v_fma_f64 v[24:25], v[50:51], v[98:99], -v[96:97]
	v_fma_f64 v[50:51], v[52:53], v[110:111], -v[112:113]
	;; [unrolled: 1-line block ×3, first 2 shown]
	v_add_f64 v[60:61], v[74:75], -v[70:71]
	v_add_f64 v[28:29], v[12:13], -v[100:101]
	;; [unrolled: 1-line block ×4, first 2 shown]
	v_fma_f64 v[48:49], v[48:49], v[118:119], -v[80:81]
	v_fma_f64 v[52:53], v[56:57], v[122:123], v[120:121]
	v_fma_f64 v[56:57], v[132:133], v[94:95], v[72:73]
	v_add_f64 v[58:59], v[26:27], -v[88:89]
	v_add_f64 v[62:63], v[136:137], -v[78:79]
	;; [unrolled: 1-line block ×3, first 2 shown]
	v_fma_f64 v[76:77], v[76:77], 2.0, -v[66:67]
	v_add_f64 v[32:33], v[22:23], -v[24:25]
	v_add_f64 v[24:25], v[10:11], -v[38:39]
	;; [unrolled: 1-line block ×4, first 2 shown]
	v_fma_f64 v[74:75], v[74:75], 2.0, -v[60:61]
	v_add_f64 v[86:87], v[66:67], -v[68:69]
	v_add_f64 v[48:49], v[44:45], -v[48:49]
	;; [unrolled: 1-line block ×7, first 2 shown]
	v_fma_f64 v[26:27], v[26:27], 2.0, -v[58:59]
	v_fma_f64 v[68:69], v[138:139], 2.0, -v[68:69]
	;; [unrolled: 1-line block ×8, first 2 shown]
	v_add_f64 v[46:47], v[24:25], v[46:47]
	v_fma_f64 v[66:67], v[66:67], 2.0, -v[86:87]
	v_fma_f64 v[44:45], v[44:45], 2.0, -v[48:49]
	v_add_f64 v[50:51], v[72:73], v[50:51]
	v_fma_f64 v[18:19], v[18:19], 2.0, -v[70:71]
	v_add_f64 v[48:49], v[70:71], v[48:49]
	v_fma_f64 v[90:91], v[58:59], 2.0, -v[78:79]
	v_fma_f64 v[92:93], v[60:61], 2.0, -v[88:89]
	;; [unrolled: 1-line block ×5, first 2 shown]
	v_fma_f64 v[60:61], v[86:87], s[0:1], v[80:81]
	v_add_f64 v[22:23], v[26:27], -v[22:23]
	v_add_f64 v[56:57], v[74:75], -v[10:11]
	;; [unrolled: 1-line block ×3, first 2 shown]
	v_fma_f64 v[42:43], v[88:89], s[0:1], v[78:79]
	v_fma_f64 v[10:11], v[24:25], 2.0, -v[46:47]
	v_add_f64 v[24:25], v[62:63], -v[40:41]
	v_add_f64 v[44:45], v[76:77], -v[44:45]
	v_fma_f64 v[40:41], v[72:73], 2.0, -v[50:51]
	v_add_f64 v[68:69], v[18:19], -v[68:69]
	v_fma_f64 v[64:65], v[70:71], 2.0, -v[48:49]
	v_fma_f64 v[96:97], v[48:49], s[0:1], v[50:51]
	v_fma_f64 v[70:71], v[92:93], s[14:15], v[90:91]
	;; [unrolled: 1-line block ×3, first 2 shown]
	v_add_f64 v[94:95], v[20:21], -v[58:59]
	v_fma_f64 v[60:61], v[48:49], s[14:15], v[60:61]
	v_fma_f64 v[26:27], v[26:27], 2.0, -v[22:23]
	v_fma_f64 v[98:99], v[74:75], 2.0, -v[56:57]
	v_add_f64 v[102:103], v[22:23], -v[52:53]
	v_fma_f64 v[42:43], v[46:47], s[14:15], v[42:43]
	v_fma_f64 v[100:101], v[62:63], 2.0, -v[24:25]
	v_fma_f64 v[62:63], v[76:77], 2.0, -v[44:45]
	v_add_f64 v[112:113], v[24:25], -v[68:69]
	v_fma_f64 v[48:49], v[64:65], s[14:15], v[40:41]
	v_fma_f64 v[18:19], v[18:19], 2.0, -v[68:69]
	v_fma_f64 v[110:111], v[10:11], s[14:15], v[70:71]
	v_fma_f64 v[58:59], v[64:65], s[14:15], v[72:73]
	;; [unrolled: 1-line block ×3, first 2 shown]
	v_fma_f64 v[64:65], v[20:21], 2.0, -v[94:95]
	v_add_f64 v[20:21], v[94:95], v[44:45]
	v_fma_f64 v[72:73], v[80:81], 2.0, -v[60:61]
	v_add_f64 v[44:45], v[26:27], -v[98:99]
	v_fma_f64 v[22:23], v[22:23], 2.0, -v[102:103]
	v_fma_f64 v[68:69], v[78:79], 2.0, -v[42:43]
	v_add_f64 v[62:63], v[100:101], -v[62:63]
	v_fma_f64 v[24:25], v[24:25], 2.0, -v[112:113]
	v_fma_f64 v[76:77], v[66:67], s[0:1], v[48:49]
	v_fma_f64 v[48:49], v[90:91], 2.0, -v[110:111]
	v_fma_f64 v[70:71], v[16:17], 2.0, -v[58:59]
	;; [unrolled: 1-line block ×3, first 2 shown]
	v_add_f64 v[78:79], v[64:65], -v[18:19]
	v_fma_f64 v[18:19], v[112:113], s[0:1], v[102:103]
	v_fma_f64 v[50:51], v[60:61], s[12:13], v[42:43]
	v_fma_f64 v[16:17], v[94:95], 2.0, -v[20:21]
	v_fma_f64 v[98:99], v[58:59], s[10:11], v[110:111]
	v_fma_f64 v[26:27], v[26:27], 2.0, -v[44:45]
	;; [unrolled: 2-line block ×3, first 2 shown]
	v_mul_f64 v[100:101], v[46:47], s[0:1]
	v_fma_f64 v[94:95], v[24:25], s[14:15], v[22:23]
	v_fma_f64 v[86:87], v[40:41], 2.0, -v[76:77]
	v_fma_f64 v[40:41], v[70:71], s[4:5], v[48:49]
	v_fma_f64 v[18:19], v[20:21], s[14:15], v[18:19]
	;; [unrolled: 1-line block ×3, first 2 shown]
	v_add_f64 v[50:51], v[44:45], -v[78:79]
	v_fma_f64 v[118:119], v[76:77], s[4:5], v[98:99]
	v_mul_f64 v[98:99], v[88:89], s[0:1]
	v_mul_f64 v[88:89], v[24:25], s[0:1]
	v_fma_f64 v[116:117], v[80:81], s[4:5], v[96:97]
	v_mul_f64 v[96:97], v[92:93], s[0:1]
	v_mul_f64 v[92:93], v[16:17], s[0:1]
	v_add_f64 v[120:121], v[26:27], -v[90:91]
	v_mov_b32_e32 v90, 0xa0
	v_fma_f64 v[114:115], v[16:17], s[14:15], v[94:95]
	v_mul_f64 v[94:95], v[20:21], s[0:1]
	v_fma_f64 v[40:41], v[86:87], s[6:7], v[40:41]
	v_mul_u32_u24_sdwa v8, v8, v90 dst_sel:DWORD dst_unused:UNUSED_PAD src0_sel:WORD_0 src1_sel:DWORD
	v_fma_f64 v[42:43], v[42:43], 2.0, -v[66:67]
	v_fma_f64 v[44:45], v[44:45], 2.0, -v[50:51]
	v_or_b32_sdwa v90, v8, v9 dst_sel:DWORD dst_unused:UNUSED_PAD src0_sel:DWORD src1_sel:BYTE_0
	v_fma_f64 v[8:9], v[102:103], 2.0, -v[18:19]
	v_fma_f64 v[122:123], v[110:111], 2.0, -v[118:119]
	;; [unrolled: 1-line block ×3, first 2 shown]
	v_add_nc_u32_e32 v110, 0x1c00, v104
	v_lshl_add_u32 v111, v90, 3, 0
	v_mul_f64 v[102:103], v[10:11], s[0:1]
	v_mul_f64 v[90:91], v[112:113], s[0:1]
	v_cmp_gt_u32_e64 s0, 30, v82
	v_fma_f64 v[26:27], v[26:27], 2.0, -v[120:121]
	v_fma_f64 v[22:23], v[22:23], 2.0, -v[114:115]
	;; [unrolled: 1-line block ×3, first 2 shown]
	ds_write2_b64 v111, v[18:19], v[66:67] offset0:140 offset1:150
	ds_write2_b64 v111, v[8:9], v[42:43] offset0:60 offset1:70
	;; [unrolled: 1-line block ×7, first 2 shown]
	ds_write2_b64 v111, v[26:27], v[48:49] offset1:10
	s_waitcnt lgkmcnt(0)
	s_barrier
	buffer_gl0_inv
	ds_read2_b64 v[20:23], v104 offset1:90
	ds_read2_b64 v[8:11], v106 offset0:104 offset1:224
	ds_read2_b64 v[24:27], v110 offset0:64 offset1:154
	ds_read2_b64 v[44:47], v108 offset0:58 offset1:148
	ds_read2_b64 v[16:19], v105 offset0:52 offset1:142
	ds_read2_b64 v[48:51], v109 offset0:116 offset1:206
	ds_read2_b64 v[40:43], v107 offset0:110 offset1:200
	ds_read_b64 v[68:69], v104 offset:10560
	s_and_saveexec_b32 s1, s0
	s_cbranch_execz .LBB0_19
; %bb.18:
	ds_read_b64 v[66:67], v104 offset:3600
	ds_read_b64 v[0:1], v104 offset:7440
	ds_read_b64 v[2:3], v104 offset:11280
.LBB0_19:
	s_or_b32 exec_lo, exec_lo, s1
	v_mul_f64 v[14:15], v[14:15], v[36:37]
	v_fma_f64 v[12:13], v[12:13], 2.0, -v[28:29]
	v_fma_f64 v[38:39], v[38:39], 2.0, -v[52:53]
	s_waitcnt lgkmcnt(0)
	s_barrier
	buffer_gl0_inv
	v_fma_f64 v[14:15], v[54:55], v[34:35], v[14:15]
	v_add_f64 v[14:15], v[30:31], -v[14:15]
	v_add_f64 v[32:33], v[14:15], v[32:33]
	v_fma_f64 v[28:29], v[30:31], 2.0, -v[14:15]
	v_fma_f64 v[14:15], v[14:15], 2.0, -v[32:33]
	v_add_f64 v[12:13], v[28:29], -v[12:13]
	v_add_f64 v[30:31], v[32:33], v[100:101]
	v_add_f64 v[34:35], v[14:15], -v[102:103]
	v_add_f64 v[36:37], v[12:13], v[56:57]
	v_add_f64 v[30:31], v[98:99], v[30:31]
	v_fma_f64 v[28:29], v[28:29], 2.0, -v[12:13]
	v_fma_f64 v[56:57], v[64:65], 2.0, -v[78:79]
	v_add_f64 v[34:35], v[96:97], v[34:35]
	v_fma_f64 v[12:13], v[12:13], 2.0, -v[36:37]
	v_fma_f64 v[32:33], v[32:33], 2.0, -v[30:31]
	v_add_f64 v[38:39], v[28:29], -v[38:39]
	v_add_f64 v[52:53], v[36:37], v[94:95]
	v_fma_f64 v[54:55], v[74:75], s[12:13], v[30:31]
	v_fma_f64 v[14:15], v[14:15], 2.0, -v[34:35]
	v_add_f64 v[74:75], v[12:13], -v[92:93]
	v_fma_f64 v[78:79], v[80:81], s[6:7], v[32:33]
	v_fma_f64 v[76:77], v[76:77], s[10:11], v[34:35]
	v_fma_f64 v[28:29], v[28:29], 2.0, -v[38:39]
	v_add_f64 v[52:53], v[90:91], v[52:53]
	v_fma_f64 v[64:65], v[60:61], s[10:11], v[54:55]
	v_add_f64 v[54:55], v[38:39], v[62:63]
	v_fma_f64 v[80:81], v[86:87], s[4:5], v[14:15]
	;; [unrolled: 2-line block ×3, first 2 shown]
	v_fma_f64 v[58:59], v[58:59], s[12:13], v[76:77]
	v_add_f64 v[56:57], v[28:29], -v[56:57]
	v_fma_f64 v[36:37], v[36:37], 2.0, -v[52:53]
	v_fma_f64 v[30:31], v[30:31], 2.0, -v[64:65]
	;; [unrolled: 1-line block ×3, first 2 shown]
	v_add_nc_u32_e32 v72, 0x800, v104
	v_add_nc_u32_e32 v73, 0x1000, v104
	v_add_nc_u32_e32 v74, 0x400, v104
	v_add_nc_u32_e32 v75, 0x2000, v104
	v_add_nc_u32_e32 v76, 0x1400, v104
	v_fma_f64 v[70:71], v[70:71], s[10:11], v[80:81]
	v_fma_f64 v[12:13], v[12:13], 2.0, -v[60:61]
	v_fma_f64 v[32:33], v[32:33], 2.0, -v[62:63]
	;; [unrolled: 1-line block ×5, first 2 shown]
	ds_write2_b64 v111, v[52:53], v[64:65] offset0:140 offset1:150
	ds_write2_b64 v111, v[36:37], v[30:31] offset0:60 offset1:70
	;; [unrolled: 1-line block ×7, first 2 shown]
	ds_write2_b64 v111, v[28:29], v[14:15] offset1:10
	s_waitcnt lgkmcnt(0)
	s_barrier
	buffer_gl0_inv
	ds_read2_b64 v[32:35], v104 offset1:90
	ds_read2_b64 v[28:31], v72 offset0:104 offset1:224
	ds_read2_b64 v[56:59], v110 offset0:64 offset1:154
	;; [unrolled: 1-line block ×6, first 2 shown]
	ds_read_b64 v[70:71], v104 offset:10560
	s_and_saveexec_b32 s1, s0
	s_cbranch_execz .LBB0_21
; %bb.20:
	ds_read_b64 v[64:65], v104 offset:3600
	ds_read_b64 v[4:5], v104 offset:7440
	ds_read_b64 v[6:7], v104 offset:11280
.LBB0_21:
	s_or_b32 exec_lo, exec_lo, s1
	v_lshlrev_b32_e32 v72, 1, v82
	v_mov_b32_e32 v73, 0
	v_add_nc_u32_e32 v76, 0xffffffba, v82
	v_cmp_gt_u32_e64 s1, 0x46, v82
	v_add_nc_u32_e32 v105, 0x10e, v82
	v_mov_b32_e32 v88, 0xcccd
	v_lshlrev_b64 v[74:75], 4, v[72:73]
	v_add_nc_u32_e32 v72, 40, v72
	v_cndmask_b32_e64 v158, v76, v83, s1
	v_mov_b32_e32 v76, v73
	v_mul_u32_u24_sdwa v89, v105, v88 dst_sel:DWORD dst_unused:UNUSED_PAD src0_sel:WORD_0 src1_sel:DWORD
	v_add_nc_u32_e32 v103, 0x168, v82
	v_add_co_u32 v106, s1, s8, v74
	v_add_co_ci_u32_e64 v107, s1, s9, v75, s1
	v_lshlrev_b32_e32 v75, 1, v158
	v_add_co_u32 v77, s1, 0x960, v106
	v_add_co_ci_u32_e64 v78, s1, 0, v107, s1
	v_lshlrev_b64 v[74:75], 4, v[75:76]
	v_add_co_u32 v79, s1, 0x800, v106
	v_add_co_ci_u32_e64 v80, s1, 0, v107, s1
	v_lshrrev_b32_e32 v159, 23, v89
	v_add_co_u32 v76, s1, s8, v74
	v_add_co_ci_u32_e64 v81, s1, s9, v75, s1
	v_lshlrev_b64 v[72:73], 4, v[72:73]
	v_add_co_u32 v74, s1, 0x960, v76
	v_add_co_ci_u32_e64 v75, s1, 0, v81, s1
	v_add_co_u32 v86, s1, 0x800, v76
	v_add_co_ci_u32_e64 v87, s1, 0, v81, s1
	s_clause 0x3
	global_load_dwordx4 v[92:95], v[79:80], off offset:352
	global_load_dwordx4 v[96:99], v[77:78], off offset:16
	;; [unrolled: 1-line block ×4, first 2 shown]
	v_mul_lo_u16 v74, 0xa0, v159
	v_add_nc_u32_e32 v102, 0x1c2, v82
	v_add_co_u32 v75, s1, s8, v72
	v_mul_u32_u24_sdwa v77, v103, v88 dst_sel:DWORD dst_unused:UNUSED_PAD src0_sel:WORD_0 src1_sel:DWORD
	v_add_co_ci_u32_e64 v76, s1, s9, v73, s1
	v_sub_nc_u16 v160, v105, v74
	v_mov_b32_e32 v74, 5
	v_add_co_u32 v72, s1, 0x960, v75
	v_lshrrev_b32_e32 v77, 23, v77
	v_mul_u32_u24_sdwa v79, v102, v88 dst_sel:DWORD dst_unused:UNUSED_PAD src0_sel:WORD_0 src1_sel:DWORD
	v_add_co_ci_u32_e64 v73, s1, 0, v76, s1
	v_lshlrev_b32_sdwa v78, v74, v160 dst_sel:DWORD dst_unused:UNUSED_PAD src0_sel:DWORD src1_sel:WORD_0
	v_add_co_u32 v74, s1, 0x800, v75
	v_add_co_ci_u32_e64 v75, s1, 0, v76, s1
	v_mul_lo_u16 v76, 0xa0, v77
	v_lshrrev_b32_e32 v77, 23, v79
	v_add_co_u32 v78, s1, s8, v78
	v_add_co_ci_u32_e64 v79, null, s9, 0, s1
	v_sub_nc_u16 v80, v103, v76
	v_mul_lo_u16 v81, 0xa0, v77
	v_add_co_u32 v76, s1, 0x960, v78
	v_add_co_ci_u32_e64 v77, s1, 0, v79, s1
	v_and_b32_e32 v161, 0xffff, v80
	v_sub_nc_u16 v80, v102, v81
	v_add_co_u32 v78, s1, 0x800, v78
	s_clause 0x2
	global_load_dwordx4 v[116:119], v[74:75], off offset:352
	global_load_dwordx4 v[120:123], v[72:73], off offset:16
	;; [unrolled: 1-line block ×3, first 2 shown]
	v_add_co_ci_u32_e64 v79, s1, 0, v79, s1
	v_and_b32_e32 v162, 0xffff, v80
	v_lshlrev_b32_e32 v80, 5, v161
	s_mov_b32 s4, 0xe8584caa
	s_mov_b32 s5, 0x3febb67a
	;; [unrolled: 1-line block ×3, first 2 shown]
	v_lshlrev_b32_e32 v72, 5, v162
	v_add_co_u32 v76, s1, s8, v80
	v_add_co_ci_u32_e64 v77, null, s9, 0, s1
	v_add_co_u32 v80, s1, s8, v72
	v_add_co_ci_u32_e64 v81, null, s9, 0, s1
	v_add_co_u32 v72, s1, 0x800, v76
	v_add_co_ci_u32_e64 v73, s1, 0, v77, s1
	v_add_co_u32 v74, s1, 0x800, v80
	v_add_co_ci_u32_e64 v75, s1, 0, v81, s1
	;; [unrolled: 2-line block ×4, first 2 shown]
	s_clause 0x4
	global_load_dwordx4 v[128:131], v[78:79], off offset:352
	global_load_dwordx4 v[132:135], v[72:73], off offset:352
	;; [unrolled: 1-line block ×5, first 2 shown]
	s_mov_b32 s6, s4
	v_cmp_lt_u32_e64 s1, 0x45, v82
	s_waitcnt vmcnt(0) lgkmcnt(0)
	s_barrier
	buffer_gl0_inv
	v_mul_f64 v[72:73], v[30:31], v[94:95]
	v_mul_f64 v[74:75], v[56:57], v[98:99]
	v_mul_f64 v[80:81], v[60:61], v[110:111]
	v_mul_f64 v[88:89], v[58:59], v[114:115]
	v_mul_f64 v[94:95], v[10:11], v[94:95]
	v_mul_f64 v[98:99], v[24:25], v[98:99]
	v_mul_f64 v[110:111], v[44:45], v[110:111]
	v_mul_f64 v[114:115], v[26:27], v[114:115]
	v_fma_f64 v[72:73], v[10:11], v[92:93], -v[72:73]
	v_fma_f64 v[74:75], v[24:25], v[96:97], -v[74:75]
	;; [unrolled: 1-line block ×4, first 2 shown]
	v_fma_f64 v[92:93], v[30:31], v[92:93], v[94:95]
	v_fma_f64 v[30:31], v[56:57], v[96:97], v[98:99]
	;; [unrolled: 1-line block ×4, first 2 shown]
	v_mov_b32_e32 v111, 3
	v_cndmask_b32_e64 v112, 0, 0xf00, s1
	v_lshl_add_u32 v108, v82, 3, 0
	v_mul_f64 v[76:77], v[62:63], v[118:119]
	v_mul_f64 v[78:79], v[52:53], v[122:123]
	;; [unrolled: 1-line block ×6, first 2 shown]
	v_add_f64 v[56:57], v[22:23], v[86:87]
	v_fma_f64 v[46:47], v[46:47], v[116:117], -v[76:77]
	v_fma_f64 v[48:49], v[48:49], v[120:121], -v[78:79]
	;; [unrolled: 1-line block ×3, first 2 shown]
	v_fma_f64 v[62:63], v[62:63], v[116:117], v[118:119]
	v_lshlrev_b32_e32 v117, 3, v158
	v_mul_u32_u24_e32 v118, 0xf00, v159
	v_mul_f64 v[148:149], v[12:13], v[130:131]
	v_mul_f64 v[150:151], v[14:15], v[134:135]
	;; [unrolled: 1-line block ×10, first 2 shown]
	v_add3_u32 v112, 0, v112, v117
	v_add_f64 v[26:27], v[16:17], v[46:47]
	v_fma_f64 v[80:81], v[40:41], v[128:129], -v[148:149]
	v_fma_f64 v[76:77], v[42:43], v[132:133], -v[150:151]
	;; [unrolled: 1-line block ×5, first 2 shown]
	v_fma_f64 v[40:41], v[52:53], v[120:121], v[122:123]
	v_add_f64 v[0:1], v[72:73], v[74:75]
	v_fma_f64 v[96:97], v[12:13], v[128:129], v[130:131]
	v_fma_f64 v[52:53], v[54:55], v[124:125], v[126:127]
	v_add_f64 v[2:3], v[46:47], v[48:49]
	v_fma_f64 v[54:55], v[70:71], v[140:141], v[138:139]
	v_fma_f64 v[100:101], v[4:5], v[136:137], v[24:25]
	;; [unrolled: 1-line block ×4, first 2 shown]
	v_add_f64 v[10:11], v[86:87], v[90:91]
	v_add_f64 v[14:15], v[20:21], v[72:73]
	v_add_f64 v[24:25], v[92:93], -v[30:31]
	v_add_f64 v[4:5], v[80:81], v[50:51]
	v_add_f64 v[60:61], v[18:19], v[80:81]
	;; [unrolled: 1-line block ×5, first 2 shown]
	v_add_f64 v[58:59], v[62:63], -v[40:41]
	v_fma_f64 v[0:1], v[0:1], -0.5, v[20:21]
	v_add_f64 v[109:110], v[66:67], v[42:43]
	v_add_f64 v[20:21], v[94:95], -v[44:45]
	v_fma_f64 v[2:3], v[2:3], -0.5, v[16:17]
	v_add_f64 v[16:17], v[96:97], -v[52:53]
	v_fma_f64 v[10:11], v[10:11], -0.5, v[22:23]
	v_add_f64 v[14:15], v[14:15], v[74:75]
	v_add_f64 v[22:23], v[26:27], v[48:49]
	;; [unrolled: 1-line block ×3, first 2 shown]
	v_fma_f64 v[4:5], v[4:5], -0.5, v[18:19]
	v_add_f64 v[18:19], v[98:99], -v[54:55]
	v_fma_f64 v[6:7], v[6:7], -0.5, v[8:9]
	v_add_f64 v[8:9], v[100:101], -v[70:71]
	v_fma_f64 v[12:13], v[12:13], -0.5, v[66:67]
	v_add_f64 v[66:67], v[60:61], v[50:51]
	v_fma_f64 v[113:114], v[24:25], s[4:5], v[0:1]
	v_fma_f64 v[0:1], v[24:25], s[6:7], v[0:1]
	v_add_f64 v[24:25], v[68:69], v[88:89]
	v_add_f64 v[56:57], v[109:110], v[78:79]
	v_fma_f64 v[68:69], v[58:59], s[4:5], v[2:3]
	v_fma_f64 v[2:3], v[58:59], s[6:7], v[2:3]
	v_lshl_add_u32 v110, v161, 3, 0
	v_fma_f64 v[115:116], v[20:21], s[4:5], v[10:11]
	v_fma_f64 v[10:11], v[20:21], s[6:7], v[10:11]
	v_lshl_add_u32 v109, v162, 3, 0
	v_fma_f64 v[20:21], v[16:17], s[4:5], v[4:5]
	v_fma_f64 v[4:5], v[16:17], s[6:7], v[4:5]
	;; [unrolled: 1-line block ×6, first 2 shown]
	v_lshlrev_b32_sdwa v8, v111, v160 dst_sel:DWORD dst_unused:UNUSED_PAD src0_sel:DWORD src1_sel:WORD_0
	v_add_nc_u32_e32 v9, 0xe00, v108
	v_add3_u32 v111, 0, v118, v8
	v_add_nc_u32_e32 v8, 0x1c00, v110
	ds_write2_b64 v104, v[14:15], v[113:114] offset1:160
	ds_write_b64 v104, v[0:1] offset:2560
	ds_write2_b64 v112, v[26:27], v[115:116] offset1:160
	ds_write_b64 v112, v[10:11] offset:2560
	ds_write2_b64 v9, v[22:23], v[68:69] offset0:52 offset1:212
	ds_write_b64 v108, v[2:3] offset:6560
	ds_write2_b64 v111, v[66:67], v[20:21] offset1:160
	ds_write_b64 v111, v[4:5] offset:2560
	ds_write2_b64 v8, v[24:25], v[16:17] offset0:64 offset1:224
	ds_write_b64 v110, v[6:7] offset:10240
	s_and_saveexec_b32 s1, s0
	s_cbranch_execz .LBB0_23
; %bb.22:
	v_add_nc_u32_e32 v0, 0x1c00, v109
	ds_write2_b64 v0, v[56:57], v[58:59] offset0:64 offset1:224
	ds_write_b64 v109, v[60:61] offset:10240
.LBB0_23:
	s_or_b32 exec_lo, exec_lo, s1
	v_add_nc_u32_e32 v8, 0x1c00, v104
	v_add_nc_u32_e32 v0, 0x800, v104
	v_add_nc_u32_e32 v9, 0x1000, v104
	v_add_nc_u32_e32 v10, 0x400, v104
	v_add_nc_u32_e32 v20, 0x2000, v104
	v_add_nc_u32_e32 v24, 0x1400, v104
	s_waitcnt lgkmcnt(0)
	s_barrier
	buffer_gl0_inv
	ds_read2_b64 v[4:7], v104 offset1:90
	ds_read2_b64 v[0:3], v0 offset0:104 offset1:224
	ds_read2_b64 v[12:15], v8 offset0:64 offset1:154
	;; [unrolled: 1-line block ×6, first 2 shown]
	ds_read_b64 v[68:69], v104 offset:10560
	s_and_saveexec_b32 s1, s0
	s_cbranch_execz .LBB0_25
; %bb.24:
	ds_read_b64 v[56:57], v104 offset:3600
	ds_read_b64 v[58:59], v104 offset:7440
	;; [unrolled: 1-line block ×3, first 2 shown]
.LBB0_25:
	s_or_b32 exec_lo, exec_lo, s1
	v_add_f64 v[66:67], v[92:93], v[30:31]
	v_add_f64 v[113:114], v[94:95], v[44:45]
	;; [unrolled: 1-line block ×7, first 2 shown]
	v_add_f64 v[72:73], v[72:73], -v[74:75]
	v_add_f64 v[74:75], v[34:35], v[94:95]
	v_add_f64 v[62:63], v[36:37], v[62:63]
	;; [unrolled: 1-line block ×5, first 2 shown]
	v_add_f64 v[46:47], v[46:47], -v[48:49]
	v_add_f64 v[48:49], v[80:81], -v[50:51]
	;; [unrolled: 1-line block ×4, first 2 shown]
	s_mov_b32 s4, 0xe8584caa
	s_mov_b32 s5, 0xbfebb67a
	;; [unrolled: 1-line block ×4, first 2 shown]
	s_waitcnt lgkmcnt(0)
	v_fma_f64 v[32:33], v[66:67], -0.5, v[32:33]
	v_add_f64 v[66:67], v[86:87], -v[90:91]
	v_fma_f64 v[34:35], v[113:114], -0.5, v[34:35]
	v_fma_f64 v[76:77], v[121:122], -0.5, v[64:65]
	;; [unrolled: 1-line block ×5, first 2 shown]
	v_add_f64 v[30:31], v[92:93], v[30:31]
	v_add_f64 v[44:45], v[74:75], v[44:45]
	;; [unrolled: 1-line block ×6, first 2 shown]
	s_barrier
	buffer_gl0_inv
	v_fma_f64 v[70:71], v[72:73], s[4:5], v[32:33]
	v_fma_f64 v[32:33], v[72:73], s[6:7], v[32:33]
	;; [unrolled: 1-line block ×12, first 2 shown]
	v_add_nc_u32_e32 v42, 0xe00, v108
	v_add_nc_u32_e32 v43, 0x1c00, v110
	ds_write2_b64 v104, v[30:31], v[70:71] offset1:160
	ds_write_b64 v104, v[32:33] offset:2560
	ds_write2_b64 v112, v[44:45], v[72:73] offset1:160
	ds_write_b64 v112, v[34:35] offset:2560
	ds_write2_b64 v42, v[40:41], v[74:75] offset0:52 offset1:212
	ds_write_b64 v108, v[36:37] offset:6560
	ds_write2_b64 v111, v[52:53], v[46:47] offset1:160
	ds_write_b64 v111, v[38:39] offset:2560
	ds_write2_b64 v43, v[54:55], v[48:49] offset0:64 offset1:224
	ds_write_b64 v110, v[28:29] offset:10240
	s_and_saveexec_b32 s1, s0
	s_cbranch_execz .LBB0_27
; %bb.26:
	v_add_nc_u32_e32 v28, 0x1c00, v109
	ds_write2_b64 v28, v[62:63], v[64:65] offset0:64 offset1:224
	ds_write_b64 v109, v[66:67] offset:10240
.LBB0_27:
	s_or_b32 exec_lo, exec_lo, s1
	v_add_nc_u32_e32 v36, 0x1c00, v104
	v_add_nc_u32_e32 v32, 0x800, v104
	;; [unrolled: 1-line block ×6, first 2 shown]
	s_waitcnt lgkmcnt(0)
	s_barrier
	buffer_gl0_inv
	ds_read2_b64 v[28:31], v104 offset1:90
	ds_read2_b64 v[32:35], v32 offset0:104 offset1:224
	ds_read2_b64 v[40:43], v36 offset0:64 offset1:154
	;; [unrolled: 1-line block ×6, first 2 shown]
	ds_read_b64 v[72:73], v104 offset:10560
	s_and_saveexec_b32 s1, s0
	s_cbranch_execz .LBB0_29
; %bb.28:
	ds_read_b64 v[62:63], v104 offset:3600
	ds_read_b64 v[64:65], v104 offset:7440
	;; [unrolled: 1-line block ×3, first 2 shown]
.LBB0_29:
	s_or_b32 exec_lo, exec_lo, s1
	s_and_saveexec_b32 s1, vcc_lo
	s_cbranch_execz .LBB0_32
; %bb.30:
	v_lshlrev_b32_e32 v70, 1, v103
	v_mov_b32_e32 v71, 0
	v_add_nc_u32_e32 v104, 0xb4, v82
	s_mov_b32 s4, 0xe8584caa
	s_mov_b32 s5, 0x3febb67a
	;; [unrolled: 1-line block ×3, first 2 shown]
	v_lshlrev_b64 v[74:75], 4, v[70:71]
	v_lshlrev_b32_e32 v70, 1, v105
	s_mov_b32 s6, s4
	v_add_co_u32 v78, vcc_lo, s8, v74
	v_add_co_ci_u32_e32 v79, vcc_lo, s9, v75, vcc_lo
	v_lshlrev_b64 v[74:75], 4, v[70:71]
	v_add_co_u32 v76, vcc_lo, 0x1d60, v78
	v_add_co_ci_u32_e32 v77, vcc_lo, 0, v79, vcc_lo
	v_lshlrev_b32_e32 v70, 1, v104
	v_add_co_u32 v80, vcc_lo, s8, v74
	v_add_co_ci_u32_e32 v81, vcc_lo, s9, v75, vcc_lo
	v_add_co_u32 v74, vcc_lo, 0x1800, v78
	v_add_co_ci_u32_e32 v75, vcc_lo, 0, v79, vcc_lo
	;; [unrolled: 2-line block ×4, first 2 shown]
	s_clause 0x1
	global_load_dwordx4 v[86:89], v[74:75], off offset:1376
	global_load_dwordx4 v[90:93], v[76:77], off offset:16
	v_add_co_u32 v74, vcc_lo, 0x1800, v106
	v_lshlrev_b64 v[114:115], 4, v[70:71]
	v_add_co_ci_u32_e32 v75, vcc_lo, 0, v107, vcc_lo
	v_add_co_u32 v76, vcc_lo, 0x1d60, v106
	v_lshlrev_b32_e32 v70, 1, v83
	v_add_co_ci_u32_e32 v77, vcc_lo, 0, v107, vcc_lo
	s_clause 0x1
	global_load_dwordx4 v[94:97], v[78:79], off offset:1376
	global_load_dwordx4 v[98:101], v[80:81], off offset:16
	v_add_co_u32 v78, vcc_lo, s8, v114
	s_clause 0x1
	global_load_dwordx4 v[106:109], v[74:75], off offset:1376
	global_load_dwordx4 v[110:113], v[76:77], off offset:16
	v_add_co_ci_u32_e32 v79, vcc_lo, s9, v115, vcc_lo
	v_lshlrev_b64 v[74:75], 4, v[70:71]
	v_add_co_u32 v76, vcc_lo, 0x1d60, v78
	v_add_co_ci_u32_e32 v77, vcc_lo, 0, v79, vcc_lo
	v_mov_b32_e32 v83, v71
	v_add_co_u32 v70, vcc_lo, s8, v74
	v_add_co_ci_u32_e32 v81, vcc_lo, s9, v75, vcc_lo
	v_add_co_u32 v74, vcc_lo, 0x1800, v78
	v_add_co_ci_u32_e32 v75, vcc_lo, 0, v79, vcc_lo
	;; [unrolled: 2-line block ×4, first 2 shown]
	s_clause 0x3
	global_load_dwordx4 v[114:117], v[74:75], off offset:1376
	global_load_dwordx4 v[118:121], v[76:77], off offset:16
	;; [unrolled: 1-line block ×4, first 2 shown]
	v_mul_hi_u32 v70, 0x88888889, v105
	v_mul_hi_u32 v77, 0x88888889, v104
	v_lshlrev_b64 v[74:75], 4, v[82:83]
	v_add_co_u32 v162, vcc_lo, s2, v84
	v_mul_hi_u32 v76, 0x88888889, v103
	v_add_co_ci_u32_e32 v163, vcc_lo, s3, v85, vcc_lo
	v_add_co_u32 v74, vcc_lo, v162, v74
	v_lshrrev_b32_e32 v85, 8, v70
	v_lshrrev_b32_e32 v70, 8, v77
	v_add_co_ci_u32_e32 v75, vcc_lo, v163, v75, vcc_lo
	v_lshrrev_b32_e32 v132, 8, v76
	v_add_co_u32 v76, vcc_lo, 0x1800, v74
	v_mad_u32_u24 v70, 0x3c0, v70, v104
	v_add_co_ci_u32_e32 v77, vcc_lo, 0, v75, vcc_lo
	v_add_co_u32 v78, vcc_lo, 0x3800, v74
	v_add_co_ci_u32_e32 v79, vcc_lo, 0, v75, vcc_lo
	v_add_co_u32 v80, vcc_lo, 0x2000, v74
	v_lshlrev_b64 v[83:84], 4, v[70:71]
	v_mad_u32_u24 v70, 0x3c0, v85, v105
	v_add_co_ci_u32_e32 v81, vcc_lo, 0, v75, vcc_lo
	v_add_co_u32 v104, vcc_lo, 0x4000, v74
	v_add_co_ci_u32_e32 v105, vcc_lo, 0, v75, vcc_lo
	v_lshlrev_b64 v[130:131], 4, v[70:71]
	v_mad_u32_u24 v70, 0x3c0, v132, v103
	v_add_co_u32 v132, vcc_lo, v162, v83
	v_add_co_ci_u32_e32 v133, vcc_lo, v163, v84, vcc_lo
	v_lshlrev_b64 v[83:84], 4, v[70:71]
	v_add_co_u32 v134, vcc_lo, 0x1800, v132
	v_add_co_ci_u32_e32 v135, vcc_lo, 0, v133, vcc_lo
	v_add_co_u32 v130, vcc_lo, v162, v130
	v_add_co_ci_u32_e32 v131, vcc_lo, v163, v131, vcc_lo
	;; [unrolled: 2-line block ×5, first 2 shown]
	s_waitcnt vmcnt(9) lgkmcnt(1)
	v_mul_f64 v[146:147], v[54:55], v[88:89]
	s_waitcnt vmcnt(8) lgkmcnt(0)
	v_mul_f64 v[144:145], v[72:73], v[92:93]
	v_mul_f64 v[92:93], v[68:69], v[92:93]
	;; [unrolled: 1-line block ×3, first 2 shown]
	s_waitcnt vmcnt(7)
	v_mul_f64 v[148:149], v[52:53], v[96:97]
	s_waitcnt vmcnt(6)
	v_mul_f64 v[150:151], v[50:51], v[100:101]
	v_mul_f64 v[96:97], v[24:25], v[96:97]
	s_waitcnt vmcnt(5)
	v_mul_f64 v[140:141], v[34:35], v[108:109]
	;; [unrolled: 3-line block ×3, first 2 shown]
	v_mul_f64 v[112:113], v[40:41], v[112:113]
	v_mul_f64 v[100:101], v[22:23], v[100:101]
	v_fma_f64 v[26:27], v[26:27], v[86:87], -v[146:147]
	v_fma_f64 v[68:69], v[68:69], v[90:91], -v[144:145]
	v_fma_f64 v[72:73], v[72:73], v[90:91], v[92:93]
	v_fma_f64 v[54:55], v[54:55], v[86:87], v[88:89]
	v_add_co_u32 v87, vcc_lo, v162, v83
	v_add_co_ci_u32_e32 v88, vcc_lo, v163, v84, vcc_lo
	v_fma_f64 v[24:25], v[24:25], v[94:95], -v[148:149]
	v_fma_f64 v[22:23], v[22:23], v[98:99], -v[150:151]
	v_fma_f64 v[52:53], v[52:53], v[94:95], v[96:97]
	v_fma_f64 v[2:3], v[2:3], v[106:107], -v[140:141]
	s_waitcnt vmcnt(3)
	v_mul_f64 v[152:153], v[18:19], v[116:117]
	s_waitcnt vmcnt(2)
	v_mul_f64 v[154:155], v[20:21], v[120:121]
	;; [unrolled: 2-line block ×4, first 2 shown]
	v_mul_f64 v[124:125], v[44:45], v[124:125]
	v_mul_f64 v[128:129], v[42:43], v[128:129]
	;; [unrolled: 1-line block ×4, first 2 shown]
	v_fma_f64 v[34:35], v[34:35], v[106:107], v[108:109]
	v_fma_f64 v[40:41], v[40:41], v[110:111], v[142:143]
	v_fma_f64 v[12:13], v[12:13], v[110:111], -v[112:113]
	v_fma_f64 v[50:51], v[50:51], v[98:99], v[100:101]
	v_add_f64 v[97:98], v[32:33], v[54:55]
	v_add_f64 v[106:107], v[54:55], -v[72:73]
	v_add_f64 v[95:96], v[26:27], -v[68:69]
	v_add_f64 v[99:100], v[26:27], v[68:69]
	v_add_f64 v[26:27], v[0:1], v[26:27]
	v_add_f64 v[112:113], v[24:25], -v[22:23]
	v_add_f64 v[91:92], v[4:5], v[2:3]
	v_fma_f64 v[46:47], v[46:47], v[114:115], v[152:153]
	v_fma_f64 v[48:49], v[48:49], v[118:119], v[154:155]
	;; [unrolled: 1-line block ×4, first 2 shown]
	v_fma_f64 v[16:17], v[16:17], v[122:123], -v[124:125]
	v_fma_f64 v[85:86], v[14:15], v[126:127], -v[128:129]
	;; [unrolled: 1-line block ×4, first 2 shown]
	v_add_f64 v[83:84], v[28:29], v[34:35]
	v_add_f64 v[14:15], v[34:35], v[40:41]
	;; [unrolled: 1-line block ×3, first 2 shown]
	v_add_f64 v[93:94], v[2:3], -v[12:13]
	v_add_f64 v[2:3], v[54:55], v[72:73]
	v_add_f64 v[54:55], v[52:53], v[50:51]
	;; [unrolled: 1-line block ×3, first 2 shown]
	v_add_f64 v[34:35], v[34:35], -v[40:41]
	v_add_f64 v[24:25], v[10:11], v[24:25]
	v_add_f64 v[116:117], v[38:39], v[52:53]
	v_add_f64 v[122:123], v[52:53], -v[50:51]
	v_add_f64 v[12:13], v[91:92], v[12:13]
	v_add_f64 v[108:109], v[46:47], v[48:49]
	;; [unrolled: 1-line block ×6, first 2 shown]
	v_add_f64 v[126:127], v[16:17], -v[85:86]
	v_add_f64 v[120:121], v[18:19], v[20:21]
	v_add_f64 v[44:45], v[44:45], -v[42:43]
	v_fma_f64 v[28:29], v[14:15], -0.5, v[28:29]
	v_add_f64 v[14:15], v[83:84], v[40:41]
	v_fma_f64 v[40:41], v[89:90], -0.5, v[4:5]
	v_add_f64 v[83:84], v[36:37], v[46:47]
	v_fma_f64 v[128:129], v[54:55], -0.5, v[38:39]
	v_add_f64 v[89:90], v[46:47], -v[48:49]
	v_add_f64 v[46:47], v[8:9], v[18:19]
	v_add_f64 v[52:53], v[18:19], -v[20:21]
	v_fma_f64 v[32:33], v[2:3], -0.5, v[32:33]
	v_add_f64 v[2:3], v[97:98], v[72:73]
	v_fma_f64 v[72:73], v[99:100], -0.5, v[0:1]
	v_add_f64 v[0:1], v[26:27], v[68:69]
	;; [unrolled: 2-line block ×6, first 2 shown]
	v_fma_f64 v[97:98], v[120:121], -0.5, v[8:9]
	v_fma_f64 v[18:19], v[93:94], s[6:7], v[28:29]
	v_fma_f64 v[10:11], v[93:94], s[4:5], v[28:29]
	;; [unrolled: 1-line block ×4, first 2 shown]
	v_add_f64 v[22:23], v[83:84], v[48:49]
	v_fma_f64 v[85:86], v[112:113], s[6:7], v[128:129]
	v_add_f64 v[20:21], v[46:47], v[20:21]
	v_fma_f64 v[38:39], v[112:113], s[4:5], v[128:129]
	v_fma_f64 v[30:31], v[95:96], s[4:5], v[32:33]
	;; [unrolled: 1-line block ×15, first 2 shown]
	v_add_co_u32 v68, vcc_lo, 0x1800, v87
	v_add_co_ci_u32_e32 v69, vcc_lo, 0, v88, vcc_lo
	v_add_co_u32 v72, vcc_lo, 0x3800, v87
	v_add_co_ci_u32_e32 v73, vcc_lo, 0, v88, vcc_lo
	global_store_dwordx4 v[74:75], v[12:15], off
	global_store_dwordx4 v[76:77], v[16:19], off offset:1536
	global_store_dwordx4 v[78:79], v[8:11], off offset:1024
	;; [unrolled: 1-line block ×5, first 2 shown]
	global_store_dwordx4 v[132:133], v[20:23], off
	global_store_dwordx4 v[134:135], v[52:55], off offset:1536
	global_store_dwordx4 v[136:137], v[40:43], off offset:1024
	global_store_dwordx4 v[130:131], v[4:7], off
	global_store_dwordx4 v[138:139], v[83:86], off offset:1536
	global_store_dwordx4 v[160:161], v[36:39], off offset:1024
	;; [unrolled: 3-line block ×3, first 2 shown]
	s_and_b32 exec_lo, exec_lo, s0
	s_cbranch_execz .LBB0_32
; %bb.31:
	v_subrev_nc_u32_e32 v0, 30, v82
	v_cndmask_b32_e64 v0, v0, v102, s0
	v_lshlrev_b32_e32 v70, 1, v0
	v_lshlrev_b64 v[0:1], 4, v[70:71]
	v_add_co_u32 v2, vcc_lo, s8, v0
	v_add_co_ci_u32_e32 v3, vcc_lo, s9, v1, vcc_lo
	v_add_co_u32 v0, vcc_lo, 0x1800, v2
	v_add_co_ci_u32_e32 v1, vcc_lo, 0, v3, vcc_lo
	;; [unrolled: 2-line block ×3, first 2 shown]
	s_clause 0x1
	global_load_dwordx4 v[0:3], v[0:1], off offset:1376
	global_load_dwordx4 v[4:7], v[4:5], off offset:16
	s_waitcnt vmcnt(1)
	v_mul_f64 v[8:9], v[64:65], v[2:3]
	s_waitcnt vmcnt(0)
	v_mul_f64 v[10:11], v[66:67], v[6:7]
	v_mul_f64 v[2:3], v[58:59], v[2:3]
	;; [unrolled: 1-line block ×3, first 2 shown]
	v_fma_f64 v[8:9], v[58:59], v[0:1], -v[8:9]
	v_fma_f64 v[10:11], v[60:61], v[4:5], -v[10:11]
	v_fma_f64 v[0:1], v[64:65], v[0:1], v[2:3]
	v_fma_f64 v[2:3], v[66:67], v[4:5], v[6:7]
	v_add_f64 v[12:13], v[56:57], v[8:9]
	v_add_f64 v[4:5], v[8:9], v[10:11]
	;; [unrolled: 1-line block ×4, first 2 shown]
	v_add_f64 v[14:15], v[0:1], -v[2:3]
	v_add_f64 v[20:21], v[8:9], -v[10:11]
	v_add_f64 v[0:1], v[12:13], v[10:11]
	v_fma_f64 v[18:19], v[4:5], -0.5, v[56:57]
	v_add_f64 v[2:3], v[16:17], v[2:3]
	v_fma_f64 v[22:23], v[6:7], -0.5, v[62:63]
	v_add_co_u32 v12, vcc_lo, 0x5800, v74
	v_add_co_ci_u32_e32 v13, vcc_lo, 0, v75, vcc_lo
	v_fma_f64 v[4:5], v[14:15], s[4:5], v[18:19]
	v_fma_f64 v[8:9], v[14:15], s[6:7], v[18:19]
	;; [unrolled: 1-line block ×4, first 2 shown]
	global_store_dwordx4 v[76:77], v[0:3], off offset:1056
	global_store_dwordx4 v[78:79], v[4:7], off offset:544
	;; [unrolled: 1-line block ×3, first 2 shown]
.LBB0_32:
	s_endpgm
	.section	.rodata,"a",@progbits
	.p2align	6, 0x0
	.amdhsa_kernel fft_rtc_fwd_len1440_factors_10_16_3_3_wgs_90_tpt_90_halfLds_dp_ip_CI_unitstride_sbrr_dirReg
		.amdhsa_group_segment_fixed_size 0
		.amdhsa_private_segment_fixed_size 0
		.amdhsa_kernarg_size 88
		.amdhsa_user_sgpr_count 6
		.amdhsa_user_sgpr_private_segment_buffer 1
		.amdhsa_user_sgpr_dispatch_ptr 0
		.amdhsa_user_sgpr_queue_ptr 0
		.amdhsa_user_sgpr_kernarg_segment_ptr 1
		.amdhsa_user_sgpr_dispatch_id 0
		.amdhsa_user_sgpr_flat_scratch_init 0
		.amdhsa_user_sgpr_private_segment_size 0
		.amdhsa_wavefront_size32 1
		.amdhsa_uses_dynamic_stack 0
		.amdhsa_system_sgpr_private_segment_wavefront_offset 0
		.amdhsa_system_sgpr_workgroup_id_x 1
		.amdhsa_system_sgpr_workgroup_id_y 0
		.amdhsa_system_sgpr_workgroup_id_z 0
		.amdhsa_system_sgpr_workgroup_info 0
		.amdhsa_system_vgpr_workitem_id 0
		.amdhsa_next_free_vgpr 164
		.amdhsa_next_free_sgpr 22
		.amdhsa_reserve_vcc 1
		.amdhsa_reserve_flat_scratch 0
		.amdhsa_float_round_mode_32 0
		.amdhsa_float_round_mode_16_64 0
		.amdhsa_float_denorm_mode_32 3
		.amdhsa_float_denorm_mode_16_64 3
		.amdhsa_dx10_clamp 1
		.amdhsa_ieee_mode 1
		.amdhsa_fp16_overflow 0
		.amdhsa_workgroup_processor_mode 1
		.amdhsa_memory_ordered 1
		.amdhsa_forward_progress 0
		.amdhsa_shared_vgpr_count 0
		.amdhsa_exception_fp_ieee_invalid_op 0
		.amdhsa_exception_fp_denorm_src 0
		.amdhsa_exception_fp_ieee_div_zero 0
		.amdhsa_exception_fp_ieee_overflow 0
		.amdhsa_exception_fp_ieee_underflow 0
		.amdhsa_exception_fp_ieee_inexact 0
		.amdhsa_exception_int_div_zero 0
	.end_amdhsa_kernel
	.text
.Lfunc_end0:
	.size	fft_rtc_fwd_len1440_factors_10_16_3_3_wgs_90_tpt_90_halfLds_dp_ip_CI_unitstride_sbrr_dirReg, .Lfunc_end0-fft_rtc_fwd_len1440_factors_10_16_3_3_wgs_90_tpt_90_halfLds_dp_ip_CI_unitstride_sbrr_dirReg
                                        ; -- End function
	.section	.AMDGPU.csdata,"",@progbits
; Kernel info:
; codeLenInByte = 11820
; NumSgprs: 24
; NumVgprs: 164
; ScratchSize: 0
; MemoryBound: 1
; FloatMode: 240
; IeeeMode: 1
; LDSByteSize: 0 bytes/workgroup (compile time only)
; SGPRBlocks: 2
; VGPRBlocks: 20
; NumSGPRsForWavesPerEU: 24
; NumVGPRsForWavesPerEU: 164
; Occupancy: 5
; WaveLimiterHint : 1
; COMPUTE_PGM_RSRC2:SCRATCH_EN: 0
; COMPUTE_PGM_RSRC2:USER_SGPR: 6
; COMPUTE_PGM_RSRC2:TRAP_HANDLER: 0
; COMPUTE_PGM_RSRC2:TGID_X_EN: 1
; COMPUTE_PGM_RSRC2:TGID_Y_EN: 0
; COMPUTE_PGM_RSRC2:TGID_Z_EN: 0
; COMPUTE_PGM_RSRC2:TIDIG_COMP_CNT: 0
	.text
	.p2alignl 6, 3214868480
	.fill 48, 4, 3214868480
	.type	__hip_cuid_234bb37791d9fb59,@object ; @__hip_cuid_234bb37791d9fb59
	.section	.bss,"aw",@nobits
	.globl	__hip_cuid_234bb37791d9fb59
__hip_cuid_234bb37791d9fb59:
	.byte	0                               ; 0x0
	.size	__hip_cuid_234bb37791d9fb59, 1

	.ident	"AMD clang version 19.0.0git (https://github.com/RadeonOpenCompute/llvm-project roc-6.4.0 25133 c7fe45cf4b819c5991fe208aaa96edf142730f1d)"
	.section	".note.GNU-stack","",@progbits
	.addrsig
	.addrsig_sym __hip_cuid_234bb37791d9fb59
	.amdgpu_metadata
---
amdhsa.kernels:
  - .args:
      - .actual_access:  read_only
        .address_space:  global
        .offset:         0
        .size:           8
        .value_kind:     global_buffer
      - .offset:         8
        .size:           8
        .value_kind:     by_value
      - .actual_access:  read_only
        .address_space:  global
        .offset:         16
        .size:           8
        .value_kind:     global_buffer
      - .actual_access:  read_only
        .address_space:  global
        .offset:         24
        .size:           8
        .value_kind:     global_buffer
      - .offset:         32
        .size:           8
        .value_kind:     by_value
      - .actual_access:  read_only
        .address_space:  global
        .offset:         40
        .size:           8
        .value_kind:     global_buffer
      - .actual_access:  read_only
        .address_space:  global
        .offset:         48
        .size:           8
        .value_kind:     global_buffer
      - .offset:         56
        .size:           4
        .value_kind:     by_value
      - .actual_access:  read_only
        .address_space:  global
        .offset:         64
        .size:           8
        .value_kind:     global_buffer
      - .actual_access:  read_only
        .address_space:  global
        .offset:         72
        .size:           8
        .value_kind:     global_buffer
      - .address_space:  global
        .offset:         80
        .size:           8
        .value_kind:     global_buffer
    .group_segment_fixed_size: 0
    .kernarg_segment_align: 8
    .kernarg_segment_size: 88
    .language:       OpenCL C
    .language_version:
      - 2
      - 0
    .max_flat_workgroup_size: 90
    .name:           fft_rtc_fwd_len1440_factors_10_16_3_3_wgs_90_tpt_90_halfLds_dp_ip_CI_unitstride_sbrr_dirReg
    .private_segment_fixed_size: 0
    .sgpr_count:     24
    .sgpr_spill_count: 0
    .symbol:         fft_rtc_fwd_len1440_factors_10_16_3_3_wgs_90_tpt_90_halfLds_dp_ip_CI_unitstride_sbrr_dirReg.kd
    .uniform_work_group_size: 1
    .uses_dynamic_stack: false
    .vgpr_count:     164
    .vgpr_spill_count: 0
    .wavefront_size: 32
    .workgroup_processor_mode: 1
amdhsa.target:   amdgcn-amd-amdhsa--gfx1030
amdhsa.version:
  - 1
  - 2
...

	.end_amdgpu_metadata
